;; amdgpu-corpus repo=ROCm/rocm-examples kind=compiled arch=gfx950 opt=O3
	.amdgcn_target "amdgcn-amd-amdhsa--gfx950"
	.amdhsa_code_object_version 6
	.text
	.protected	_Z15dgemm_rocwmma_djjjPKdS0_S0_Pdjjjjdd ; -- Begin function _Z15dgemm_rocwmma_djjjPKdS0_S0_Pdjjjjdd
	.globl	_Z15dgemm_rocwmma_djjjPKdS0_S0_Pdjjjjdd
	.p2align	8
	.type	_Z15dgemm_rocwmma_djjjPKdS0_S0_Pdjjjjdd,@function
_Z15dgemm_rocwmma_djjjPKdS0_S0_Pdjjjjdd: ; @_Z15dgemm_rocwmma_djjjPKdS0_S0_Pdjjjjdd
; %bb.0:
	s_load_dword s4, s[0:1], 0x5c
	s_load_dwordx4 s[16:19], s[0:1], 0x0
	v_and_b32_e32 v11, 0x3ff, v0
	v_bfe_u32 v0, v0, 10, 10
	s_waitcnt lgkmcnt(0)
	s_lshr_b32 s5, s4, 16
	s_and_b32 s4, s4, 0xffff
	s_mul_i32 s2, s2, s4
	v_add_u32_e32 v1, s2, v11
	s_mul_i32 s3, s3, s5
	v_lshrrev_b32_e32 v1, 2, v1
	v_and_b32_e32 v9, 0x3ffffff0, v1
	v_add_lshl_u32 v12, s3, v0, 4
	v_cmp_gt_u32_e32 vcc, s16, v9
	v_cmp_gt_u32_e64 s[2:3], s17, v12
	s_and_b64 s[2:3], vcc, s[2:3]
	s_and_saveexec_b64 s[4:5], s[2:3]
	s_cbranch_execz .LBB0_7
; %bb.1:
	s_load_dwordx8 s[4:11], s[0:1], 0x10
	s_load_dwordx4 s[12:15], s[0:1], 0x30
	s_mov_b32 s2, 0
	s_cmp_lg_u32 s18, 0
	v_and_b32_e32 v13, 15, v11
	v_lshrrev_b32_e32 v20, 2, v11
	s_cbranch_scc0 .LBB0_8
; %bb.2:
	v_and_b32_e32 v10, 15, v11
	v_and_b32_e32 v8, 12, v20
	s_waitcnt lgkmcnt(0)
	v_mov_b32_e32 v0, s4
	v_mov_b32_e32 v1, s5
	v_mad_u64_u32 v[14:15], s[4:5], s12, v10, v[8:9]
	v_mov_b32_e32 v15, 0
	v_lshl_add_u64 v[16:17], v[14:15], 3, v[0:1]
	v_mad_u64_u32 v[0:1], s[4:5], s13, v10, v[8:9]
	v_mov_b32_e32 v2, s6
	v_mov_b32_e32 v3, s7
	;; [unrolled: 1-line block ×3, first 2 shown]
	v_lshl_add_u64 v[18:19], v[0:1], 3, v[2:3]
	v_mov_b64_e32 v[0:1], 0
	v_mul_lo_u32 v21, v9, s12
	v_mul_lo_u32 v22, v12, s13
	v_mov_b64_e32 v[2:3], v[0:1]
	v_mov_b64_e32 v[4:5], v[0:1]
	v_mov_b64_e32 v[6:7], v[0:1]
.LBB0_3:                                ; =>This Inner Loop Header: Depth=1
	v_add_u32_e32 v14, s2, v21
	v_lshl_add_u64 v[32:33], v[14:15], 3, v[16:17]
	v_add_u32_e32 v14, s2, v22
	v_lshl_add_u64 v[40:41], v[14:15], 3, v[18:19]
	global_load_dwordx4 v[24:27], v[32:33], off
	global_load_dwordx4 v[28:31], v[32:33], off offset:16
	s_nop 0
	global_load_dwordx4 v[32:35], v[40:41], off
	global_load_dwordx4 v[36:39], v[40:41], off offset:16
	s_add_i32 s2, s2, 16
	s_cmp_ge_u32 s2, s18
	s_waitcnt vmcnt(1)
	v_mfma_f64_16x16x4_f64 v[0:7], v[24:25], v[32:33], v[0:7]
	v_mfma_f64_16x16x4_f64 v[0:7], v[26:27], v[34:35], v[0:7]
	s_waitcnt vmcnt(0)
	v_mfma_f64_16x16x4_f64 v[0:7], v[28:29], v[36:37], v[0:7]
	v_mfma_f64_16x16x4_f64 v[0:7], v[30:31], v[38:39], v[0:7]
	s_cbranch_scc0 .LBB0_3
; %bb.4:
	s_branch .LBB0_6
.LBB0_5:
	v_mov_b64_e32 v[0:1], 0
	v_and_b32_e32 v8, 12, v20
	v_mov_b32_e32 v10, v13
	v_mov_b64_e32 v[2:3], v[0:1]
	v_mov_b64_e32 v[4:5], v[0:1]
	;; [unrolled: 1-line block ×3, first 2 shown]
.LBB0_6:
	s_waitcnt lgkmcnt(0)
	v_mad_u64_u32 v[14:15], s[2:3], v9, s14, v[12:13]
	v_mov_b32_e32 v16, s8
	v_mov_b32_e32 v17, s9
	;; [unrolled: 1-line block ×3, first 2 shown]
	v_lshl_add_u64 v[18:19], v[14:15], 3, v[16:17]
	v_mad_u64_u32 v[16:17], s[2:3], s14, v8, v[10:11]
	v_mov_b32_e32 v17, v15
	v_add_u32_e32 v14, s14, v16
	v_lshl_add_u64 v[20:21], v[16:17], 3, v[18:19]
	v_lshl_add_u64 v[24:25], v[14:15], 3, v[18:19]
	v_add_u32_e32 v14, s14, v14
	global_load_dwordx2 v[20:21], v[20:21], off
	v_lshl_add_u64 v[26:27], v[14:15], 3, v[18:19]
	v_add_u32_e32 v14, s14, v14
	global_load_dwordx2 v[16:17], v[24:25], off
	global_load_dwordx2 v[22:23], v[26:27], off
	v_lshl_add_u64 v[18:19], v[14:15], 3, v[18:19]
	global_load_dwordx2 v[18:19], v[18:19], off
	v_mad_u64_u32 v[12:13], s[4:5], v9, s15, v[12:13]
	v_mov_b32_e32 v24, s10
	v_mov_b32_e32 v25, s11
	v_lshlrev_b32_e32 v11, 2, v11
	s_movk_i32 s6, 0x80
	v_bfrev_b32_e32 v14, 0.5
	v_mov_b32_e32 v13, v15
	v_mad_u64_u32 v[8:9], s[4:5], s15, v8, v[10:11]
	v_bitop3_b32 v26, v11, s6, v14 bitop3:0x6c
	v_lshl_add_u64 v[10:11], v[12:13], 3, v[24:25]
	s_load_dwordx4 s[0:3], s[0:1], 0x40
	v_mov_b32_e32 v9, v15
	v_add_u32_e32 v14, s15, v8
	v_lshl_add_u64 v[12:13], v[8:9], 3, v[10:11]
	v_lshl_add_u64 v[8:9], v[14:15], 3, v[10:11]
	v_add_u32_e32 v14, s15, v14
	s_waitcnt vmcnt(3)
	ds_swizzle_b32 v27, v20 offset:swizzle(ROTATE,1,16)
	ds_swizzle_b32 v28, v21 offset:swizzle(ROTATE,1,16)
	s_waitcnt vmcnt(2)
	ds_swizzle_b32 v29, v16 offset:swizzle(ROTATE,1,16)
	ds_swizzle_b32 v30, v17 offset:swizzle(ROTATE,1,16)
	;; [unrolled: 3-line block ×4, first 2 shown]
	s_waitcnt lgkmcnt(0)
	v_mov_b32_dpp v16, v27 quad_perm:[0,1,2,3] row_mask:0x5 bank_mask:0xf
	v_mov_b32_dpp v17, v28 quad_perm:[0,1,2,3] row_mask:0x5 bank_mask:0xf
	;; [unrolled: 1-line block ×6, first 2 shown]
	ds_permute_b32 v31, v26, v16
	ds_permute_b32 v32, v26, v17
	;; [unrolled: 1-line block ×4, first 2 shown]
	v_mov_b32_dpp v24, v22 quad_perm:[0,1,2,3] row_mask:0x5 bank_mask:0xf
	v_mov_b32_dpp v25, v23 quad_perm:[0,1,2,3] row_mask:0x5 bank_mask:0xf
	ds_permute_b32 v20, v26, v18
	ds_permute_b32 v21, v26, v19
	;; [unrolled: 1-line block ×4, first 2 shown]
	s_waitcnt lgkmcnt(7)
	v_mov_b32_dpp v18, v31 quad_perm:[0,1,2,3] row_mask:0x3 bank_mask:0xf
	s_waitcnt lgkmcnt(6)
	v_mov_b32_dpp v19, v32 quad_perm:[0,1,2,3] row_mask:0x3 bank_mask:0xf
	;; [unrolled: 2-line block ×6, first 2 shown]
	v_mul_f64 v[18:19], s[2:3], v[18:19]
	v_mul_f64 v[16:17], s[2:3], v[24:25]
	s_waitcnt lgkmcnt(1)
	v_mov_b32_dpp v22, v29 quad_perm:[0,1,2,3] row_mask:0x3 bank_mask:0xf
	s_waitcnt lgkmcnt(0)
	v_mov_b32_dpp v23, v30 quad_perm:[0,1,2,3] row_mask:0x3 bank_mask:0xf
	v_mul_f64 v[20:21], s[2:3], v[20:21]
	v_fmac_f64_e32 v[18:19], s[0:1], v[6:7]
	v_fmac_f64_e32 v[16:17], s[0:1], v[4:5]
	v_mul_f64 v[4:5], s[2:3], v[22:23]
	v_fmac_f64_e32 v[20:21], s[0:1], v[2:3]
	ds_swizzle_b32 v2, v18 offset:swizzle(ROTATE,1,16)
	ds_swizzle_b32 v3, v19 offset:swizzle(ROTATE,1,16)
	;; [unrolled: 1-line block ×4, first 2 shown]
	v_fmac_f64_e32 v[4:5], s[0:1], v[0:1]
	ds_swizzle_b32 v22, v20 offset:swizzle(ROTATE,1,16)
	ds_swizzle_b32 v23, v21 offset:swizzle(ROTATE,1,16)
	;; [unrolled: 1-line block ×4, first 2 shown]
	s_waitcnt lgkmcnt(7)
	v_mov_b32_dpp v2, v16 quad_perm:[0,1,2,3] row_mask:0x5 bank_mask:0xf
	s_waitcnt lgkmcnt(6)
	v_mov_b32_dpp v3, v17 quad_perm:[0,1,2,3] row_mask:0x5 bank_mask:0xf
	;; [unrolled: 2-line block ×6, first 2 shown]
	ds_permute_b32 v0, v26, v2
	ds_permute_b32 v1, v26, v3
	;; [unrolled: 1-line block ×4, first 2 shown]
	s_waitcnt lgkmcnt(5)
	v_mov_b32_dpp v20, v24 quad_perm:[0,1,2,3] row_mask:0x5 bank_mask:0xf
	s_waitcnt lgkmcnt(4)
	v_mov_b32_dpp v21, v25 quad_perm:[0,1,2,3] row_mask:0x5 bank_mask:0xf
	ds_permute_b32 v6, v26, v22
	ds_permute_b32 v7, v26, v23
	;; [unrolled: 1-line block ×4, first 2 shown]
	s_waitcnt lgkmcnt(7)
	v_mov_b32_dpp v0, v22 quad_perm:[0,1,2,3] row_mask:0x3 bank_mask:0xf
	s_waitcnt lgkmcnt(6)
	v_mov_b32_dpp v1, v23 quad_perm:[0,1,2,3] row_mask:0x3 bank_mask:0xf
	;; [unrolled: 2-line block ×6, first 2 shown]
	global_store_dwordx2 v[12:13], v[0:1], off
	global_store_dwordx2 v[8:9], v[4:5], off
	v_lshl_add_u64 v[0:1], v[14:15], 3, v[10:11]
	v_add_u32_e32 v14, s15, v14
	s_waitcnt lgkmcnt(1)
	v_mov_b32_dpp v18, v16 quad_perm:[0,1,2,3] row_mask:0x3 bank_mask:0xf
	s_waitcnt lgkmcnt(0)
	v_mov_b32_dpp v19, v17 quad_perm:[0,1,2,3] row_mask:0x3 bank_mask:0xf
	global_store_dwordx2 v[0:1], v[2:3], off
	v_lshl_add_u64 v[0:1], v[14:15], 3, v[10:11]
	global_store_dwordx2 v[0:1], v[18:19], off
.LBB0_7:
	s_endpgm
.LBB0_8:
                                        ; implicit-def: $vgpr6_vgpr7
                                        ; implicit-def: $vgpr10
                                        ; implicit-def: $vgpr8
	s_cbranch_execnz .LBB0_5
	s_branch .LBB0_6
	.section	.rodata,"a",@progbits
	.p2align	6, 0x0
	.amdhsa_kernel _Z15dgemm_rocwmma_djjjPKdS0_S0_Pdjjjjdd
		.amdhsa_group_segment_fixed_size 0
		.amdhsa_private_segment_fixed_size 0
		.amdhsa_kernarg_size 336
		.amdhsa_user_sgpr_count 2
		.amdhsa_user_sgpr_dispatch_ptr 0
		.amdhsa_user_sgpr_queue_ptr 0
		.amdhsa_user_sgpr_kernarg_segment_ptr 1
		.amdhsa_user_sgpr_dispatch_id 0
		.amdhsa_user_sgpr_kernarg_preload_length 0
		.amdhsa_user_sgpr_kernarg_preload_offset 0
		.amdhsa_user_sgpr_private_segment_size 0
		.amdhsa_uses_dynamic_stack 0
		.amdhsa_enable_private_segment 0
		.amdhsa_system_sgpr_workgroup_id_x 1
		.amdhsa_system_sgpr_workgroup_id_y 1
		.amdhsa_system_sgpr_workgroup_id_z 0
		.amdhsa_system_sgpr_workgroup_info 0
		.amdhsa_system_vgpr_workitem_id 1
		.amdhsa_next_free_vgpr 42
		.amdhsa_next_free_sgpr 20
		.amdhsa_accum_offset 44
		.amdhsa_reserve_vcc 1
		.amdhsa_float_round_mode_32 0
		.amdhsa_float_round_mode_16_64 0
		.amdhsa_float_denorm_mode_32 3
		.amdhsa_float_denorm_mode_16_64 3
		.amdhsa_dx10_clamp 1
		.amdhsa_ieee_mode 1
		.amdhsa_fp16_overflow 0
		.amdhsa_tg_split 0
		.amdhsa_exception_fp_ieee_invalid_op 0
		.amdhsa_exception_fp_denorm_src 0
		.amdhsa_exception_fp_ieee_div_zero 0
		.amdhsa_exception_fp_ieee_overflow 0
		.amdhsa_exception_fp_ieee_underflow 0
		.amdhsa_exception_fp_ieee_inexact 0
		.amdhsa_exception_int_div_zero 0
	.end_amdhsa_kernel
	.text
.Lfunc_end0:
	.size	_Z15dgemm_rocwmma_djjjPKdS0_S0_Pdjjjjdd, .Lfunc_end0-_Z15dgemm_rocwmma_djjjPKdS0_S0_Pdjjjjdd
                                        ; -- End function
	.set _Z15dgemm_rocwmma_djjjPKdS0_S0_Pdjjjjdd.num_vgpr, 42
	.set _Z15dgemm_rocwmma_djjjPKdS0_S0_Pdjjjjdd.num_agpr, 0
	.set _Z15dgemm_rocwmma_djjjPKdS0_S0_Pdjjjjdd.numbered_sgpr, 20
	.set _Z15dgemm_rocwmma_djjjPKdS0_S0_Pdjjjjdd.num_named_barrier, 0
	.set _Z15dgemm_rocwmma_djjjPKdS0_S0_Pdjjjjdd.private_seg_size, 0
	.set _Z15dgemm_rocwmma_djjjPKdS0_S0_Pdjjjjdd.uses_vcc, 1
	.set _Z15dgemm_rocwmma_djjjPKdS0_S0_Pdjjjjdd.uses_flat_scratch, 0
	.set _Z15dgemm_rocwmma_djjjPKdS0_S0_Pdjjjjdd.has_dyn_sized_stack, 0
	.set _Z15dgemm_rocwmma_djjjPKdS0_S0_Pdjjjjdd.has_recursion, 0
	.set _Z15dgemm_rocwmma_djjjPKdS0_S0_Pdjjjjdd.has_indirect_call, 0
	.section	.AMDGPU.csdata,"",@progbits
; Kernel info:
; codeLenInByte = 1332
; TotalNumSgprs: 26
; NumVgprs: 42
; NumAgprs: 0
; TotalNumVgprs: 42
; ScratchSize: 0
; MemoryBound: 0
; FloatMode: 240
; IeeeMode: 1
; LDSByteSize: 0 bytes/workgroup (compile time only)
; SGPRBlocks: 3
; VGPRBlocks: 5
; NumSGPRsForWavesPerEU: 26
; NumVGPRsForWavesPerEU: 42
; AccumOffset: 44
; Occupancy: 8
; WaveLimiterHint : 0
; COMPUTE_PGM_RSRC2:SCRATCH_EN: 0
; COMPUTE_PGM_RSRC2:USER_SGPR: 2
; COMPUTE_PGM_RSRC2:TRAP_HANDLER: 0
; COMPUTE_PGM_RSRC2:TGID_X_EN: 1
; COMPUTE_PGM_RSRC2:TGID_Y_EN: 1
; COMPUTE_PGM_RSRC2:TGID_Z_EN: 0
; COMPUTE_PGM_RSRC2:TIDIG_COMP_CNT: 1
; COMPUTE_PGM_RSRC3_GFX90A:ACCUM_OFFSET: 10
; COMPUTE_PGM_RSRC3_GFX90A:TG_SPLIT: 0
	.text
	.p2alignl 6, 3212836864
	.fill 256, 4, 3212836864
	.section	.AMDGPU.gpr_maximums,"",@progbits
	.set amdgpu.max_num_vgpr, 0
	.set amdgpu.max_num_agpr, 0
	.set amdgpu.max_num_sgpr, 0
	.text
	.type	__hip_cuid_db129f696ea89f09,@object ; @__hip_cuid_db129f696ea89f09
	.section	.bss,"aw",@nobits
	.globl	__hip_cuid_db129f696ea89f09
__hip_cuid_db129f696ea89f09:
	.byte	0                               ; 0x0
	.size	__hip_cuid_db129f696ea89f09, 1

	.ident	"AMD clang version 22.0.0git (https://github.com/RadeonOpenCompute/llvm-project roc-7.2.4 26084 f58b06dce1f9c15707c5f808fd002e18c2accf7e)"
	.section	".note.GNU-stack","",@progbits
	.addrsig
	.addrsig_sym __hip_cuid_db129f696ea89f09
	.amdgpu_metadata
---
amdhsa.kernels:
  - .agpr_count:     0
    .args:
      - .offset:         0
        .size:           4
        .value_kind:     by_value
      - .offset:         4
        .size:           4
        .value_kind:     by_value
      - .offset:         8
        .size:           4
        .value_kind:     by_value
      - .address_space:  global
        .offset:         16
        .size:           8
        .value_kind:     global_buffer
      - .address_space:  global
        .offset:         24
        .size:           8
        .value_kind:     global_buffer
      - .address_space:  global
        .offset:         32
        .size:           8
        .value_kind:     global_buffer
      - .address_space:  global
        .offset:         40
        .size:           8
        .value_kind:     global_buffer
      - .offset:         48
        .size:           4
        .value_kind:     by_value
      - .offset:         52
        .size:           4
        .value_kind:     by_value
      - .offset:         56
        .size:           4
        .value_kind:     by_value
      - .offset:         60
        .size:           4
        .value_kind:     by_value
      - .offset:         64
        .size:           8
        .value_kind:     by_value
      - .offset:         72
        .size:           8
        .value_kind:     by_value
      - .offset:         80
        .size:           4
        .value_kind:     hidden_block_count_x
      - .offset:         84
        .size:           4
        .value_kind:     hidden_block_count_y
      - .offset:         88
        .size:           4
        .value_kind:     hidden_block_count_z
      - .offset:         92
        .size:           2
        .value_kind:     hidden_group_size_x
      - .offset:         94
        .size:           2
        .value_kind:     hidden_group_size_y
      - .offset:         96
        .size:           2
        .value_kind:     hidden_group_size_z
      - .offset:         98
        .size:           2
        .value_kind:     hidden_remainder_x
      - .offset:         100
        .size:           2
        .value_kind:     hidden_remainder_y
      - .offset:         102
        .size:           2
        .value_kind:     hidden_remainder_z
      - .offset:         120
        .size:           8
        .value_kind:     hidden_global_offset_x
      - .offset:         128
        .size:           8
        .value_kind:     hidden_global_offset_y
      - .offset:         136
        .size:           8
        .value_kind:     hidden_global_offset_z
      - .offset:         144
        .size:           2
        .value_kind:     hidden_grid_dims
    .group_segment_fixed_size: 0
    .kernarg_segment_align: 8
    .kernarg_segment_size: 336
    .language:       OpenCL C
    .language_version:
      - 2
      - 0
    .max_flat_workgroup_size: 1024
    .name:           _Z15dgemm_rocwmma_djjjPKdS0_S0_Pdjjjjdd
    .private_segment_fixed_size: 0
    .sgpr_count:     26
    .sgpr_spill_count: 0
    .symbol:         _Z15dgemm_rocwmma_djjjPKdS0_S0_Pdjjjjdd.kd
    .uniform_work_group_size: 1
    .uses_dynamic_stack: false
    .vgpr_count:     42
    .vgpr_spill_count: 0
    .wavefront_size: 64
amdhsa.target:   amdgcn-amd-amdhsa--gfx950
amdhsa.version:
  - 1
  - 2
...

	.end_amdgpu_metadata
